;; amdgpu-corpus repo=ROCm/rocFFT kind=compiled arch=gfx950 opt=O3
	.text
	.amdgcn_target "amdgcn-amd-amdhsa--gfx950"
	.amdhsa_code_object_version 6
	.protected	fft_rtc_fwd_len1536_factors_16_16_6_wgs_256_tpt_256_halfLds_dp_op_CI_CI_unitstride_sbrr_dirReg ; -- Begin function fft_rtc_fwd_len1536_factors_16_16_6_wgs_256_tpt_256_halfLds_dp_op_CI_CI_unitstride_sbrr_dirReg
	.globl	fft_rtc_fwd_len1536_factors_16_16_6_wgs_256_tpt_256_halfLds_dp_op_CI_CI_unitstride_sbrr_dirReg
	.p2align	8
	.type	fft_rtc_fwd_len1536_factors_16_16_6_wgs_256_tpt_256_halfLds_dp_op_CI_CI_unitstride_sbrr_dirReg,@function
fft_rtc_fwd_len1536_factors_16_16_6_wgs_256_tpt_256_halfLds_dp_op_CI_CI_unitstride_sbrr_dirReg: ; @fft_rtc_fwd_len1536_factors_16_16_6_wgs_256_tpt_256_halfLds_dp_op_CI_CI_unitstride_sbrr_dirReg
; %bb.0:
	s_load_dwordx4 s[4:7], s[0:1], 0x58
	s_load_dwordx4 s[8:11], s[0:1], 0x0
	;; [unrolled: 1-line block ×3, first 2 shown]
	v_mov_b32_e32 v4, s2
	v_mov_b32_e32 v2, 0
	v_mov_b32_e32 v5, v2
	s_waitcnt lgkmcnt(0)
	v_cmp_lt_u64_e64 s[2:3], s[10:11], 2
	s_and_b64 vcc, exec, s[2:3]
	v_mov_b64_e32 v[6:7], 0
	s_cbranch_vccnz .LBB0_8
; %bb.1:
	s_load_dwordx2 s[2:3], s[0:1], 0x10
	s_add_u32 s16, s14, 8
	s_addc_u32 s17, s15, 0
	s_add_u32 s18, s12, 8
	s_addc_u32 s19, s13, 0
	s_waitcnt lgkmcnt(0)
	s_add_u32 s20, s2, 8
	v_mov_b64_e32 v[6:7], 0
	s_addc_u32 s21, s3, 0
	s_mov_b64 s[22:23], 1
	v_mov_b64_e32 v[68:69], v[6:7]
.LBB0_2:                                ; =>This Inner Loop Header: Depth=1
	s_load_dwordx2 s[24:25], s[20:21], 0x0
                                        ; implicit-def: $vgpr70_vgpr71
	s_waitcnt lgkmcnt(0)
	v_or_b32_e32 v3, s25, v5
	v_cmp_ne_u64_e32 vcc, 0, v[2:3]
	s_and_saveexec_b64 s[2:3], vcc
	s_xor_b64 s[26:27], exec, s[2:3]
	s_cbranch_execz .LBB0_4
; %bb.3:                                ;   in Loop: Header=BB0_2 Depth=1
	v_cvt_f32_u32_e32 v1, s24
	v_cvt_f32_u32_e32 v3, s25
	s_sub_u32 s2, 0, s24
	s_subb_u32 s3, 0, s25
	v_fmac_f32_e32 v1, 0x4f800000, v3
	v_rcp_f32_e32 v1, v1
	s_nop 0
	v_mul_f32_e32 v1, 0x5f7ffffc, v1
	v_mul_f32_e32 v3, 0x2f800000, v1
	v_trunc_f32_e32 v3, v3
	v_fmac_f32_e32 v1, 0xcf800000, v3
	v_cvt_u32_f32_e32 v3, v3
	v_cvt_u32_f32_e32 v1, v1
	v_mul_lo_u32 v8, s2, v3
	v_mul_hi_u32 v10, s2, v1
	v_mul_lo_u32 v9, s3, v1
	v_add_u32_e32 v10, v10, v8
	v_mul_lo_u32 v12, s2, v1
	v_add_u32_e32 v13, v10, v9
	v_mul_hi_u32 v8, v1, v12
	v_mul_hi_u32 v11, v1, v13
	v_mul_lo_u32 v10, v1, v13
	v_mov_b32_e32 v9, v2
	v_lshl_add_u64 v[8:9], v[8:9], 0, v[10:11]
	v_mul_hi_u32 v11, v3, v12
	v_mul_lo_u32 v12, v3, v12
	v_add_co_u32_e32 v8, vcc, v8, v12
	v_mul_hi_u32 v10, v3, v13
	s_nop 0
	v_addc_co_u32_e32 v8, vcc, v9, v11, vcc
	v_mov_b32_e32 v9, v2
	s_nop 0
	v_addc_co_u32_e32 v11, vcc, 0, v10, vcc
	v_mul_lo_u32 v10, v3, v13
	v_lshl_add_u64 v[8:9], v[8:9], 0, v[10:11]
	v_add_co_u32_e32 v1, vcc, v1, v8
	v_mul_lo_u32 v10, s2, v1
	s_nop 0
	v_addc_co_u32_e32 v3, vcc, v3, v9, vcc
	v_mul_lo_u32 v8, s2, v3
	v_mul_hi_u32 v9, s2, v1
	v_add_u32_e32 v8, v9, v8
	v_mul_lo_u32 v9, s3, v1
	v_add_u32_e32 v12, v8, v9
	v_mul_hi_u32 v14, v3, v10
	v_mul_lo_u32 v15, v3, v10
	v_mul_hi_u32 v9, v1, v12
	v_mul_lo_u32 v8, v1, v12
	v_mul_hi_u32 v10, v1, v10
	v_mov_b32_e32 v11, v2
	v_lshl_add_u64 v[8:9], v[10:11], 0, v[8:9]
	v_add_co_u32_e32 v8, vcc, v8, v15
	v_mul_hi_u32 v13, v3, v12
	s_nop 0
	v_addc_co_u32_e32 v8, vcc, v9, v14, vcc
	v_mul_lo_u32 v10, v3, v12
	s_nop 0
	v_addc_co_u32_e32 v11, vcc, 0, v13, vcc
	v_mov_b32_e32 v9, v2
	v_lshl_add_u64 v[8:9], v[8:9], 0, v[10:11]
	v_add_co_u32_e32 v1, vcc, v1, v8
	v_mul_hi_u32 v10, v4, v1
	s_nop 0
	v_addc_co_u32_e32 v3, vcc, v3, v9, vcc
	v_mad_u64_u32 v[8:9], s[2:3], v4, v3, 0
	v_mov_b32_e32 v11, v2
	v_lshl_add_u64 v[8:9], v[10:11], 0, v[8:9]
	v_mad_u64_u32 v[12:13], s[2:3], v5, v1, 0
	v_add_co_u32_e32 v1, vcc, v8, v12
	v_mad_u64_u32 v[10:11], s[2:3], v5, v3, 0
	s_nop 0
	v_addc_co_u32_e32 v8, vcc, v9, v13, vcc
	v_mov_b32_e32 v9, v2
	s_nop 0
	v_addc_co_u32_e32 v11, vcc, 0, v11, vcc
	v_lshl_add_u64 v[8:9], v[8:9], 0, v[10:11]
	v_mul_lo_u32 v1, s25, v8
	v_mul_lo_u32 v3, s24, v9
	v_mad_u64_u32 v[10:11], s[2:3], s24, v8, 0
	v_add3_u32 v1, v11, v3, v1
	v_sub_u32_e32 v3, v5, v1
	v_mov_b32_e32 v11, s25
	v_sub_co_u32_e32 v14, vcc, v4, v10
	v_lshl_add_u64 v[12:13], v[8:9], 0, 1
	s_nop 0
	v_subb_co_u32_e64 v3, s[2:3], v3, v11, vcc
	v_subrev_co_u32_e64 v10, s[2:3], s24, v14
	v_subb_co_u32_e32 v1, vcc, v5, v1, vcc
	s_nop 0
	v_subbrev_co_u32_e64 v3, s[2:3], 0, v3, s[2:3]
	v_cmp_le_u32_e64 s[2:3], s25, v3
	v_cmp_le_u32_e32 vcc, s25, v1
	s_nop 0
	v_cndmask_b32_e64 v11, 0, -1, s[2:3]
	v_cmp_le_u32_e64 s[2:3], s24, v10
	s_nop 1
	v_cndmask_b32_e64 v10, 0, -1, s[2:3]
	v_cmp_eq_u32_e64 s[2:3], s25, v3
	s_nop 1
	v_cndmask_b32_e64 v3, v11, v10, s[2:3]
	v_lshl_add_u64 v[10:11], v[8:9], 0, 2
	v_cmp_ne_u32_e64 s[2:3], 0, v3
	s_nop 1
	v_cndmask_b32_e64 v3, v13, v11, s[2:3]
	v_cndmask_b32_e64 v11, 0, -1, vcc
	v_cmp_le_u32_e32 vcc, s24, v14
	s_nop 1
	v_cndmask_b32_e64 v13, 0, -1, vcc
	v_cmp_eq_u32_e32 vcc, s25, v1
	s_nop 1
	v_cndmask_b32_e32 v1, v11, v13, vcc
	v_cmp_ne_u32_e32 vcc, 0, v1
	v_cndmask_b32_e64 v1, v12, v10, s[2:3]
	s_nop 0
	v_cndmask_b32_e32 v71, v9, v3, vcc
	v_cndmask_b32_e32 v70, v8, v1, vcc
.LBB0_4:                                ;   in Loop: Header=BB0_2 Depth=1
	s_andn2_saveexec_b64 s[2:3], s[26:27]
	s_cbranch_execz .LBB0_6
; %bb.5:                                ;   in Loop: Header=BB0_2 Depth=1
	v_cvt_f32_u32_e32 v1, s24
	s_sub_i32 s26, 0, s24
	v_mov_b32_e32 v71, v2
	v_rcp_iflag_f32_e32 v1, v1
	s_nop 0
	v_mul_f32_e32 v1, 0x4f7ffffe, v1
	v_cvt_u32_f32_e32 v1, v1
	v_mul_lo_u32 v3, s26, v1
	v_mul_hi_u32 v3, v1, v3
	v_add_u32_e32 v1, v1, v3
	v_mul_hi_u32 v1, v4, v1
	v_mul_lo_u32 v3, v1, s24
	v_sub_u32_e32 v3, v4, v3
	v_add_u32_e32 v8, 1, v1
	v_subrev_u32_e32 v9, s24, v3
	v_cmp_le_u32_e32 vcc, s24, v3
	s_nop 1
	v_cndmask_b32_e32 v3, v3, v9, vcc
	v_cndmask_b32_e32 v1, v1, v8, vcc
	v_add_u32_e32 v8, 1, v1
	v_cmp_le_u32_e32 vcc, s24, v3
	s_nop 1
	v_cndmask_b32_e32 v70, v1, v8, vcc
.LBB0_6:                                ;   in Loop: Header=BB0_2 Depth=1
	s_or_b64 exec, exec, s[2:3]
	v_mad_u64_u32 v[8:9], s[2:3], v70, s24, 0
	s_load_dwordx2 s[2:3], s[18:19], 0x0
	v_mul_lo_u32 v1, v71, s24
	v_mul_lo_u32 v3, v70, s25
	s_load_dwordx2 s[24:25], s[16:17], 0x0
	s_add_u32 s22, s22, 1
	v_add3_u32 v1, v9, v3, v1
	v_sub_co_u32_e32 v3, vcc, v4, v8
	s_addc_u32 s23, s23, 0
	s_nop 0
	v_subb_co_u32_e32 v1, vcc, v5, v1, vcc
	s_add_u32 s16, s16, 8
	s_waitcnt lgkmcnt(0)
	v_mul_lo_u32 v4, s2, v1
	v_mul_lo_u32 v5, s3, v3
	v_mad_u64_u32 v[6:7], s[2:3], s2, v3, v[6:7]
	s_addc_u32 s17, s17, 0
	v_add3_u32 v7, v5, v7, v4
	v_mul_lo_u32 v1, s24, v1
	v_mul_lo_u32 v4, s25, v3
	v_mad_u64_u32 v[68:69], s[2:3], s24, v3, v[68:69]
	s_add_u32 s18, s18, 8
	v_add3_u32 v69, v4, v69, v1
	s_addc_u32 s19, s19, 0
	v_mov_b64_e32 v[4:5], s[10:11]
	s_add_u32 s20, s20, 8
	v_cmp_ge_u64_e32 vcc, s[22:23], v[4:5]
	s_addc_u32 s21, s21, 0
	s_cbranch_vccnz .LBB0_9
; %bb.7:                                ;   in Loop: Header=BB0_2 Depth=1
	v_mov_b64_e32 v[4:5], v[70:71]
	s_branch .LBB0_2
.LBB0_8:
	v_mov_b64_e32 v[68:69], v[6:7]
	v_mov_b64_e32 v[70:71], v[4:5]
.LBB0_9:
	s_lshl_b64 s[16:17], s[10:11], 3
	s_add_u32 s2, s14, s16
	s_load_dwordx2 s[0:1], s[0:1], 0x28
	s_addc_u32 s3, s15, s17
	s_load_dwordx2 s[2:3], s[2:3], 0x0
	v_mov_b32_e32 v1, 0
                                        ; implicit-def: $vgpr4_vgpr5
                                        ; implicit-def: $vgpr22_vgpr23
                                        ; implicit-def: $vgpr18_vgpr19
                                        ; implicit-def: $vgpr14_vgpr15
                                        ; implicit-def: $vgpr30_vgpr31
                                        ; implicit-def: $vgpr34_vgpr35
                                        ; implicit-def: $vgpr26_vgpr27
                                        ; implicit-def: $vgpr50_vgpr51
                                        ; implicit-def: $vgpr46_vgpr47
                                        ; implicit-def: $vgpr66_vgpr67
                                        ; implicit-def: $vgpr54_vgpr55
                                        ; implicit-def: $vgpr62_vgpr63
                                        ; implicit-def: $vgpr58_vgpr59
                                        ; implicit-def: $vgpr42_vgpr43
                                        ; implicit-def: $vgpr38_vgpr39
                                        ; implicit-def: $vgpr10_vgpr11
	s_waitcnt lgkmcnt(0)
	v_cmp_gt_u64_e32 vcc, s[0:1], v[70:71]
	s_and_saveexec_b64 s[10:11], vcc
	s_cbranch_execz .LBB0_13
; %bb.10:
	s_movk_i32 s0, 0x60
	v_cmp_gt_u32_e64 s[0:1], s0, v0
                                        ; implicit-def: $vgpr8_vgpr9
                                        ; implicit-def: $vgpr36_vgpr37
                                        ; implicit-def: $vgpr40_vgpr41
                                        ; implicit-def: $vgpr56_vgpr57
                                        ; implicit-def: $vgpr60_vgpr61
                                        ; implicit-def: $vgpr52_vgpr53
                                        ; implicit-def: $vgpr64_vgpr65
                                        ; implicit-def: $vgpr44_vgpr45
                                        ; implicit-def: $vgpr48_vgpr49
                                        ; implicit-def: $vgpr24_vgpr25
                                        ; implicit-def: $vgpr32_vgpr33
                                        ; implicit-def: $vgpr28_vgpr29
                                        ; implicit-def: $vgpr12_vgpr13
                                        ; implicit-def: $vgpr16_vgpr17
                                        ; implicit-def: $vgpr20_vgpr21
                                        ; implicit-def: $vgpr2_vgpr3
	s_and_saveexec_b64 s[14:15], s[0:1]
	s_cbranch_execz .LBB0_12
; %bb.11:
	s_add_u32 s0, s12, s16
	s_addc_u32 s1, s13, s17
	s_load_dwordx2 s[0:1], s[0:1], 0x0
	v_lshlrev_b32_e32 v52, 4, v0
	v_mov_b32_e32 v53, 0
	v_or_b32_e32 v12, 0x1800, v52
	v_mov_b32_e32 v13, v53
	s_waitcnt lgkmcnt(0)
	v_mul_lo_u32 v1, s1, v70
	v_mul_lo_u32 v4, s0, v71
	v_mad_u64_u32 v[2:3], s[0:1], s0, v70, 0
	v_add3_u32 v3, v3, v4, v1
	v_lshl_add_u64 v[2:3], v[2:3], 4, s[4:5]
	v_lshl_add_u64 v[6:7], v[6:7], 4, v[2:3]
	;; [unrolled: 1-line block ×3, first 2 shown]
	s_movk_i32 s0, 0x1000
	v_add_co_u32_e64 v24, s[0:1], s0, v54
	v_lshl_add_u64 v[26:27], v[6:7], 0, v[12:13]
	s_nop 0
	v_addc_co_u32_e64 v25, s[0:1], 0, v55, s[0:1]
	s_movk_i32 s0, 0x2000
	global_load_dwordx4 v[8:11], v[54:55], off
	global_load_dwordx4 v[2:5], v[54:55], off offset:1536
	global_load_dwordx4 v[20:23], v[54:55], off offset:3072
	;; [unrolled: 1-line block ×3, first 2 shown]
	global_load_dwordx4 v[12:15], v[26:27], off
	global_load_dwordx4 v[28:31], v[24:25], off offset:3584
	v_add_co_u32_e64 v24, s[0:1], s0, v54
	v_mov_b32_e32 v1, 0x3000
	s_nop 0
	v_addc_co_u32_e64 v25, s[0:1], 0, v55, s[0:1]
	s_movk_i32 s0, 0x3000
	s_nop 0
	v_add_co_u32_e64 v56, s[0:1], s0, v54
	global_load_dwordx4 v[36:39], v[24:25], off offset:1024
	global_load_dwordx4 v[32:35], v[24:25], off offset:2560
	v_addc_co_u32_e64 v57, s[0:1], 0, v55, s[0:1]
	s_movk_i32 s0, 0x4000
	s_nop 0
	v_add_co_u32_e64 v72, s[0:1], s0, v54
	v_lshl_or_b32 v24, v0, 4, v1
	s_nop 0
	v_addc_co_u32_e64 v73, s[0:1], 0, v55, s[0:1]
	v_mov_b32_e32 v25, v53
	v_or_b32_e32 v52, 0x4800, v52
	s_movk_i32 s0, 0x5000
	v_lshl_add_u64 v[44:45], v[6:7], 0, v[24:25]
	v_lshl_add_u64 v[6:7], v[6:7], 0, v[52:53]
	v_add_co_u32_e64 v74, s[0:1], s0, v54
	global_load_dwordx4 v[24:27], v[44:45], off
	global_load_dwordx4 v[40:43], v[56:57], off offset:1536
	global_load_dwordx4 v[48:51], v[56:57], off offset:3072
	s_nop 0
	global_load_dwordx4 v[44:47], v[72:73], off offset:512
	v_addc_co_u32_e64 v75, s[0:1], 0, v55, s[0:1]
	global_load_dwordx4 v[64:67], v[6:7], off
	global_load_dwordx4 v[52:55], v[72:73], off offset:3584
	global_load_dwordx4 v[60:63], v[74:75], off offset:1024
	global_load_dwordx4 v[56:59], v[74:75], off offset:2560
.LBB0_12:
	s_or_b64 exec, exec, s[14:15]
	v_mov_b32_e32 v1, v0
.LBB0_13:
	s_or_b64 exec, exec, s[10:11]
	s_waitcnt vmcnt(6)
	v_add_f64 v[42:43], v[4:5], -v[42:43]
	v_add_f64 v[40:41], v[2:3], -v[40:41]
	v_fma_f64 v[74:75], v[4:5], 2.0, -v[42:43]
	s_waitcnt vmcnt(2)
	v_add_f64 v[4:5], v[28:29], -v[52:53]
	v_add_f64 v[52:53], v[30:31], -v[54:55]
	;; [unrolled: 1-line block ×3, first 2 shown]
	v_fma_f64 v[54:55], v[16:17], 2.0, -v[44:45]
	s_waitcnt vmcnt(0)
	v_add_f64 v[16:17], v[32:33], -v[56:57]
	v_add_f64 v[56:57], v[34:35], -v[58:59]
	;; [unrolled: 1-line block ×3, first 2 shown]
	v_add_f64 v[94:95], v[4:5], v[42:43]
	s_mov_b32 s4, 0x667f3bcd
	v_fma_f64 v[2:3], v[2:3], 2.0, -v[40:41]
	v_fma_f64 v[28:29], v[28:29], 2.0, -v[4:5]
	v_add_f64 v[46:47], v[18:19], -v[46:47]
	v_fma_f64 v[4:5], v[40:41], 2.0, -v[92:93]
	v_fma_f64 v[40:41], v[42:43], 2.0, -v[94:95]
	v_add_f64 v[42:43], v[44:45], -v[56:57]
	s_mov_b32 s5, 0x3fe6a09e
	v_add_f64 v[50:51], v[22:23], -v[50:51]
	v_fma_f64 v[32:33], v[32:33], 2.0, -v[16:17]
	v_add_f64 v[16:17], v[46:47], v[16:17]
	s_mov_b32 s1, 0xbfe6a09e
	s_mov_b32 s0, s4
	v_fma_f64 v[58:59], s[4:5], v[42:43], v[92:93]
	v_add_f64 v[64:65], v[12:13], -v[64:65]
	v_add_f64 v[66:67], v[14:15], -v[66:67]
	;; [unrolled: 1-line block ×3, first 2 shown]
	v_fma_f64 v[48:49], v[22:23], 2.0, -v[50:51]
	v_add_f64 v[22:23], v[36:37], -v[60:61]
	v_add_f64 v[60:61], v[38:39], -v[62:63]
	v_fma_f64 v[18:19], v[18:19], 2.0, -v[46:47]
	v_fma_f64 v[46:47], v[46:47], 2.0, -v[16:17]
	v_fmac_f64_e32 v[58:59], s[0:1], v[16:17]
	v_fma_f64 v[72:73], s[4:5], v[16:17], v[94:95]
	v_add_f64 v[16:17], v[8:9], -v[24:25]
	v_fma_f64 v[30:31], v[30:31], 2.0, -v[52:53]
	v_fma_f64 v[52:53], v[44:45], 2.0, -v[42:43]
	v_fmac_f64_e32 v[72:73], s[4:5], v[42:43]
	v_fma_f64 v[8:9], v[8:9], 2.0, -v[16:17]
	v_fma_f64 v[12:13], v[12:13], 2.0, -v[64:65]
	v_add_f64 v[42:43], v[16:17], -v[66:67]
	v_add_f64 v[76:77], v[6:7], -v[60:61]
	v_fma_f64 v[20:21], v[20:21], 2.0, -v[6:7]
	v_fma_f64 v[36:37], v[36:37], 2.0, -v[22:23]
	v_add_f64 v[24:25], v[8:9], -v[12:13]
	v_fma_f64 v[12:13], v[16:17], 2.0, -v[42:43]
	v_add_f64 v[78:79], v[50:51], v[22:23]
	v_fma_f64 v[80:81], v[6:7], 2.0, -v[76:77]
	v_fma_f64 v[38:39], v[38:39], 2.0, -v[60:61]
	;; [unrolled: 1-line block ×3, first 2 shown]
	v_fma_f64 v[44:45], s[0:1], v[52:53], v[4:5]
	v_add_f64 v[16:17], v[20:21], -v[36:37]
	v_fma_f64 v[82:83], v[50:51], 2.0, -v[78:79]
	v_add_f64 v[22:23], v[2:3], -v[28:29]
	v_add_f64 v[28:29], v[54:55], -v[32:33]
	v_fma_f64 v[32:33], s[0:1], v[80:81], v[12:13]
	v_fmac_f64_e32 v[44:45], s[0:1], v[46:47]
	v_fma_f64 v[46:47], s[0:1], v[46:47], v[40:41]
	v_fma_f64 v[8:9], v[8:9], 2.0, -v[24:25]
	v_fma_f64 v[20:21], v[20:21], 2.0, -v[16:17]
	v_fma_f64 v[2:3], v[2:3], 2.0, -v[22:23]
	v_fma_f64 v[6:7], v[54:55], 2.0, -v[28:29]
	v_fmac_f64_e32 v[32:33], s[0:1], v[82:83]
	v_add_f64 v[62:63], v[48:49], -v[38:39]
	v_add_f64 v[34:35], v[18:19], -v[34:35]
	v_fmac_f64_e32 v[46:47], s[4:5], v[52:53]
	v_add_f64 v[20:21], v[8:9], -v[20:21]
	v_fma_f64 v[36:37], v[12:13], 2.0, -v[32:33]
	v_add_f64 v[50:51], v[2:3], -v[6:7]
	v_fma_f64 v[12:13], v[4:5], 2.0, -v[44:45]
	s_mov_b32 s11, 0xbfed906b
	s_mov_b32 s10, 0xcf328d46
	;; [unrolled: 1-line block ×3, first 2 shown]
	v_add_f64 v[30:31], v[74:75], -v[30:31]
	v_add_f64 v[96:97], v[24:25], -v[62:63]
	;; [unrolled: 1-line block ×3, first 2 shown]
	v_fma_f64 v[8:9], v[8:9], 2.0, -v[20:21]
	v_fma_f64 v[2:3], v[2:3], 2.0, -v[50:51]
	;; [unrolled: 1-line block ×3, first 2 shown]
	v_fma_f64 v[4:5], s[10:11], v[12:13], v[36:37]
	s_mov_b32 s13, 0xbfd87de2
	v_fma_f64 v[24:25], v[24:25], 2.0, -v[96:97]
	v_fma_f64 v[98:99], s[4:5], v[76:77], v[42:43]
	v_add_f64 v[86:87], v[28:29], v[30:31]
	v_fma_f64 v[88:89], v[22:23], 2.0, -v[84:85]
	v_add_f64 v[2:3], v[8:9], -v[2:3]
	v_fmac_f64_e32 v[4:5], s[12:13], v[52:53]
	v_fmac_f64_e32 v[98:99], s[0:1], v[78:79]
	v_fma_f64 v[90:91], v[30:31], 2.0, -v[86:87]
	v_fma_f64 v[28:29], s[0:1], v[88:89], v[24:25]
	v_fma_f64 v[6:7], v[8:9], 2.0, -v[2:3]
	v_fma_f64 v[8:9], v[36:37], 2.0, -v[4:5]
	;; [unrolled: 1-line block ×6, first 2 shown]
	v_fmac_f64_e32 v[28:29], s[0:1], v[90:91]
	s_mov_b32 s15, 0x3fd87de2
	s_mov_b32 s14, s12
	v_fma_f64 v[54:55], v[94:95], 2.0, -v[72:73]
	v_fma_f64 v[30:31], s[12:13], v[56:57], v[36:37]
	v_fma_f64 v[40:41], v[24:25], 2.0, -v[28:29]
	v_add_f64 v[74:75], v[60:61], -v[18:19]
	v_fma_f64 v[24:25], s[14:15], v[44:45], v[32:33]
	v_fmac_f64_e32 v[30:31], s[10:11], v[54:55]
	v_add_f64 v[22:23], v[20:21], -v[74:75]
	v_fmac_f64_e32 v[24:25], s[10:11], v[46:47]
	s_mov_b32 s11, 0x3fed906b
	v_fma_f64 v[42:43], v[36:37], 2.0, -v[30:31]
	v_fma_f64 v[36:37], v[20:21], 2.0, -v[22:23]
	v_fma_f64 v[18:19], s[4:5], v[84:85], v[96:97]
	v_fma_f64 v[20:21], s[10:11], v[58:59], v[98:99]
	v_fmac_f64_e32 v[18:19], s[0:1], v[86:87]
	v_fmac_f64_e32 v[20:21], s[12:13], v[72:73]
	s_movk_i32 s0, 0x60
	v_fma_f64 v[38:39], v[32:33], 2.0, -v[24:25]
	v_fma_f64 v[32:33], v[96:97], 2.0, -v[18:19]
	;; [unrolled: 1-line block ×3, first 2 shown]
	v_cmp_gt_u32_e64 s[0:1], s0, v0
	v_lshl_add_u32 v100, v0, 7, 0
	s_and_saveexec_b64 s[10:11], s[0:1]
	s_cbranch_execz .LBB0_15
; %bb.14:
	ds_write_b128 v100, v[6:9]
	ds_write_b128 v100, v[40:43] offset:16
	ds_write_b128 v100, v[36:39] offset:32
	;; [unrolled: 1-line block ×7, first 2 shown]
.LBB0_15:
	s_or_b64 exec, exec, s[10:11]
	v_mul_f64 v[96:97], v[80:81], s[4:5]
	v_mul_f64 v[98:99], v[82:83], s[4:5]
	;; [unrolled: 1-line block ×8, first 2 shown]
	v_lshl_add_u32 v84, v0, 3, 0
	s_waitcnt lgkmcnt(0)
	s_barrier
	s_and_saveexec_b64 s[4:5], s[0:1]
	s_cbranch_execz .LBB0_17
; %bb.16:
	v_add_u32_e32 v2, 0x400, v84
	ds_read2_b64 v[40:43], v2 offset0:64 offset1:160
	v_add_u32_e32 v2, 0x800, v84
	ds_read2_b64 v[36:39], v2 offset0:128 offset1:224
	;; [unrolled: 2-line block ×5, first 2 shown]
	ds_read2_b64 v[6:9], v84 offset1:96
	v_add_u32_e32 v2, 0x2400, v84
	ds_read2_b64 v[102:105], v2 offset0:96 offset1:192
	ds_read_b64 v[2:3], v84 offset:6144
	ds_read_b64 v[20:21], v84 offset:11520
	s_waitcnt lgkmcnt(5)
	v_mov_b64_e32 v[28:29], v[88:89]
	s_waitcnt lgkmcnt(4)
	v_mov_b64_e32 v[30:31], v[22:23]
	v_mov_b64_e32 v[22:23], v[24:25]
	s_waitcnt lgkmcnt(2)
	v_mov_b64_e32 v[24:25], v[102:103]
	v_mov_b64_e32 v[18:19], v[104:105]
	;; [unrolled: 1-line block ×3, first 2 shown]
.LBB0_17:
	s_or_b64 exec, exec, s[4:5]
	v_add_f64 v[26:27], v[10:11], -v[26:27]
	v_fma_f64 v[10:11], v[10:11], 2.0, -v[26:27]
	v_fma_f64 v[14:15], v[14:15], 2.0, -v[66:67]
	v_add_f64 v[14:15], v[10:11], -v[14:15]
	v_add_f64 v[64:65], v[64:65], v[26:27]
	v_fma_f64 v[10:11], v[10:11], 2.0, -v[14:15]
	v_fma_f64 v[26:27], v[26:27], 2.0, -v[64:65]
	;; [unrolled: 1-line block ×3, first 2 shown]
	v_add_f64 v[62:63], v[10:11], -v[48:49]
	v_add_f64 v[48:49], v[26:27], -v[98:99]
	v_add_f64 v[86:87], v[96:97], v[48:49]
	v_fma_f64 v[26:27], v[26:27], 2.0, -v[86:87]
	s_mov_b32 s5, 0xbfed906b
	s_mov_b32 s4, 0xcf328d46
	;; [unrolled: 1-line block ×3, first 2 shown]
	v_add_f64 v[88:89], v[16:17], v[14:15]
	v_fma_f64 v[16:17], s[4:5], v[52:53], v[26:27]
	s_mov_b32 s11, 0x3fd87de2
	v_fma_f64 v[48:49], v[14:15], 2.0, -v[88:89]
	v_add_f64 v[14:15], v[64:65], v[94:95]
	v_fmac_f64_e32 v[16:17], s[10:11], v[12:13]
	v_add_f64 v[90:91], v[92:93], v[14:15]
	v_fma_f64 v[12:13], v[26:27], 2.0, -v[16:17]
	v_add_f64 v[26:27], v[48:49], -v[82:83]
	v_fma_f64 v[66:67], v[64:65], 2.0, -v[90:91]
	v_add_f64 v[52:53], v[80:81], v[26:27]
	s_mov_b32 s13, 0xbfd87de2
	s_mov_b32 s12, s10
	;; [unrolled: 1-line block ×3, first 2 shown]
	v_fma_f64 v[10:11], v[10:11], 2.0, -v[62:63]
	v_fma_f64 v[14:15], v[60:61], 2.0, -v[74:75]
	;; [unrolled: 1-line block ×3, first 2 shown]
	v_fma_f64 v[54:55], s[12:13], v[54:55], v[66:67]
	v_add_f64 v[48:49], v[50:51], v[62:63]
	v_fma_f64 v[50:51], s[10:11], v[46:47], v[86:87]
	v_add_f64 v[26:27], v[78:79], v[88:89]
	v_fma_f64 v[46:47], s[4:5], v[72:73], v[90:91]
	v_add_f64 v[14:15], v[10:11], -v[14:15]
	v_fmac_f64_e32 v[54:55], s[4:5], v[56:57]
	v_fmac_f64_e32 v[50:51], s[4:5], v[44:45]
	v_add_f64 v[44:45], v[76:77], v[26:27]
	v_fmac_f64_e32 v[46:47], s[10:11], v[58:59]
	v_fma_f64 v[10:11], v[10:11], 2.0, -v[14:15]
	v_fma_f64 v[66:67], v[66:67], 2.0, -v[54:55]
	;; [unrolled: 1-line block ×6, first 2 shown]
	s_waitcnt lgkmcnt(0)
	s_barrier
	s_and_saveexec_b64 s[4:5], s[0:1]
	s_cbranch_execz .LBB0_19
; %bb.18:
	ds_write_b128 v100, v[10:13]
	ds_write_b128 v100, v[64:67] offset:16
	ds_write_b128 v100, v[60:63] offset:32
	;; [unrolled: 1-line block ×7, first 2 shown]
.LBB0_19:
	s_or_b64 exec, exec, s[4:5]
	s_waitcnt lgkmcnt(0)
	s_barrier
	s_and_saveexec_b64 s[4:5], s[0:1]
	s_cbranch_execz .LBB0_21
; %bb.20:
	v_add_u32_e32 v14, 0x400, v84
	ds_read2_b64 v[64:67], v14 offset0:64 offset1:160
	v_add_u32_e32 v14, 0x800, v84
	ds_read2_b64 v[60:63], v14 offset0:128 offset1:224
	v_add_u32_e32 v14, 0x1000, v84
	ds_read2_b64 v[56:59], v14 offset0:64 offset1:160
	v_add_u32_e32 v14, 0x1800, v84
	ds_read2_b64 v[72:75], v14 offset0:96 offset1:192
	v_add_u32_e32 v14, 0x2000, v84
	ds_read2_b64 v[48:51], v14 offset0:32 offset1:128
	ds_read2_b64 v[10:13], v84 offset1:96
	v_add_u32_e32 v14, 0x2400, v84
	ds_read2_b64 v[76:79], v14 offset0:96 offset1:192
	ds_read_b64 v[14:15], v84 offset:6144
	ds_read_b64 v[46:47], v84 offset:11520
	s_waitcnt lgkmcnt(5)
	v_mov_b64_e32 v[52:53], v[74:75]
	s_waitcnt lgkmcnt(4)
	v_mov_b64_e32 v[54:55], v[48:49]
	v_mov_b64_e32 v[48:49], v[50:51]
	s_waitcnt lgkmcnt(2)
	v_mov_b64_e32 v[50:51], v[76:77]
	v_mov_b64_e32 v[44:45], v[78:79]
	;; [unrolled: 1-line block ×3, first 2 shown]
.LBB0_21:
	s_or_b64 exec, exec, s[4:5]
	v_and_b32_e32 v80, 15, v0
	v_mul_u32_u24_e32 v26, 15, v80
	v_lshlrev_b32_e32 v81, 4, v26
	global_load_dwordx4 v[76:79], v81, s[8:9] offset:16
	global_load_dwordx4 v[86:89], v81, s[8:9] offset:32
	;; [unrolled: 1-line block ×3, first 2 shown]
	s_mov_b32 s4, 0x667f3bcd
	s_mov_b32 s5, 0x3fe6a09e
	s_mov_b32 s11, 0xbfe6a09e
	s_mov_b32 s10, s4
	s_waitcnt vmcnt(2)
	v_mul_f64 v[26:27], v[64:65], v[78:79]
	v_mul_f64 v[72:73], v[40:41], v[78:79]
	v_fma_f64 v[74:75], v[40:41], v[76:77], -v[26:27]
	v_fmac_f64_e32 v[72:73], v[64:65], v[76:77]
	global_load_dwordx4 v[76:79], v81, s[8:9] offset:64
	s_waitcnt vmcnt(2)
	v_mul_f64 v[26:27], v[66:67], v[88:89]
	v_fma_f64 v[64:65], v[42:43], v[86:87], -v[26:27]
	v_mul_f64 v[42:43], v[42:43], v[88:89]
	v_fmac_f64_e32 v[42:43], v[66:67], v[86:87]
	global_load_dwordx4 v[86:89], v81, s[8:9] offset:80
	s_waitcnt vmcnt(2)
	v_mul_f64 v[26:27], v[60:61], v[92:93]
	v_mul_f64 v[40:41], v[36:37], v[92:93]
	v_fma_f64 v[36:37], v[36:37], v[90:91], -v[26:27]
	v_fmac_f64_e32 v[40:41], v[60:61], v[90:91]
	global_load_dwordx4 v[90:93], v81, s[8:9] offset:96
	s_waitcnt vmcnt(2)
	v_mul_f64 v[26:27], v[62:63], v[78:79]
	v_fma_f64 v[60:61], v[38:39], v[76:77], -v[26:27]
	v_mul_f64 v[38:39], v[38:39], v[78:79]
	v_fmac_f64_e32 v[38:39], v[62:63], v[76:77]
	global_load_dwordx4 v[76:79], v81, s[8:9] offset:144
	s_waitcnt vmcnt(2)
	v_mul_f64 v[26:27], v[56:57], v[88:89]
	v_mul_f64 v[62:63], v[32:33], v[88:89]
	v_fma_f64 v[66:67], v[32:33], v[86:87], -v[26:27]
	v_fmac_f64_e32 v[62:63], v[56:57], v[86:87]
	global_load_dwordx4 v[86:89], v81, s[8:9] offset:160
	s_waitcnt vmcnt(2)
	v_mul_f64 v[26:27], v[58:59], v[92:93]
	v_fma_f64 v[56:57], v[34:35], v[90:91], -v[26:27]
	v_mul_f64 v[82:83], v[34:35], v[92:93]
	global_load_dwordx4 v[32:35], v81, s[8:9] offset:176
	v_fmac_f64_e32 v[82:83], v[58:59], v[90:91]
	s_waitcnt vmcnt(2)
	v_mul_f64 v[26:27], v[52:53], v[78:79]
	v_mul_f64 v[58:59], v[28:29], v[78:79]
	v_fma_f64 v[78:79], v[28:29], v[76:77], -v[26:27]
	v_fmac_f64_e32 v[58:59], v[52:53], v[76:77]
	global_load_dwordx4 v[26:29], v81, s[8:9] offset:192
	s_waitcnt vmcnt(2)
	v_mul_f64 v[52:53], v[54:55], v[88:89]
	v_mul_f64 v[88:89], v[30:31], v[88:89]
	v_fma_f64 v[76:77], v[30:31], v[86:87], -v[52:53]
	v_fmac_f64_e32 v[88:89], v[54:55], v[86:87]
	global_load_dwordx4 v[52:55], v81, s[8:9] offset:208
	;; [unrolled: 6-line block ×3, first 2 shown]
	s_waitcnt vmcnt(2)
	v_mul_f64 v[48:49], v[50:51], v[28:29]
	v_mul_f64 v[90:91], v[24:25], v[28:29]
	v_fma_f64 v[86:87], v[24:25], v[26:27], -v[48:49]
	v_fmac_f64_e32 v[90:91], v[50:51], v[26:27]
	global_load_dwordx4 v[48:51], v81, s[8:9]
	s_waitcnt vmcnt(2)
	v_mul_f64 v[24:25], v[44:45], v[54:55]
	v_mul_f64 v[28:29], v[18:19], v[54:55]
	v_fma_f64 v[18:19], v[18:19], v[52:53], -v[24:25]
	v_fmac_f64_e32 v[28:29], v[44:45], v[52:53]
	global_load_dwordx4 v[52:55], v81, s[8:9] offset:128
	s_waitcnt vmcnt(2) lgkmcnt(0)
	v_mul_f64 v[24:25], v[46:47], v[32:33]
	v_fma_f64 v[44:45], v[20:21], v[30:31], -v[24:25]
	global_load_dwordx4 v[24:27], v81, s[8:9] offset:112
	v_mul_f64 v[20:21], v[20:21], v[32:33]
	v_fmac_f64_e32 v[20:21], v[46:47], v[30:31]
	v_add_f64 v[18:19], v[66:67], -v[18:19]
	v_add_f64 v[20:21], v[82:83], -v[20:21]
	v_lshlrev_b32_e32 v81, 4, v0
	s_barrier
	s_waitcnt vmcnt(2)
	v_mul_f64 v[30:31], v[12:13], v[50:51]
	v_mul_f64 v[32:33], v[8:9], v[50:51]
	v_fma_f64 v[30:31], v[8:9], v[48:49], -v[30:31]
	v_fmac_f64_e32 v[32:33], v[12:13], v[48:49]
	v_add_f64 v[8:9], v[36:37], -v[22:23]
	s_waitcnt vmcnt(1)
	v_mul_f64 v[46:47], v[16:17], v[54:55]
	v_mul_f64 v[48:49], v[4:5], v[54:55]
	v_fma_f64 v[4:5], v[4:5], v[52:53], -v[46:47]
	v_fmac_f64_e32 v[48:49], v[16:17], v[52:53]
	v_add_f64 v[22:23], v[72:73], -v[58:59]
	v_add_f64 v[46:47], v[62:63], -v[28:29]
	;; [unrolled: 1-line block ×4, first 2 shown]
	v_fma_f64 v[28:29], v[72:73], 2.0, -v[22:23]
	v_fma_f64 v[48:49], v[62:63], 2.0, -v[46:47]
	v_add_f64 v[54:55], v[60:61], -v[86:87]
	v_add_f64 v[62:63], v[64:65], -v[76:77]
	;; [unrolled: 1-line block ×5, first 2 shown]
	v_fma_f64 v[34:35], v[66:67], 2.0, -v[18:19]
	v_fma_f64 v[30:31], v[30:31], 2.0, -v[50:51]
	v_add_f64 v[58:59], v[38:39], -v[90:91]
	v_fma_f64 v[60:61], v[60:61], 2.0, -v[54:55]
	v_add_f64 v[66:67], v[42:43], -v[88:89]
	v_fma_f64 v[64:65], v[64:65], 2.0, -v[62:63]
	v_fma_f64 v[56:57], v[56:57], 2.0, -v[72:73]
	;; [unrolled: 1-line block ×7, first 2 shown]
	v_add_f64 v[46:47], v[16:17], -v[46:47]
	v_add_f64 v[78:79], v[30:31], -v[60:61]
	v_add_f64 v[88:89], v[52:53], v[54:55]
	v_add_f64 v[54:55], v[64:65], -v[56:57]
	v_fma_f64 v[76:77], v[16:17], 2.0, -v[46:47]
	v_add_f64 v[82:83], v[32:33], -v[38:39]
	v_fma_f64 v[16:17], v[30:31], 2.0, -v[78:79]
	v_add_f64 v[86:87], v[50:51], -v[58:59]
	v_add_f64 v[90:91], v[42:43], -v[74:75]
	v_fma_f64 v[30:31], v[64:65], 2.0, -v[54:55]
	v_add_f64 v[20:21], v[62:63], -v[20:21]
	v_add_f64 v[64:65], v[66:67], v[72:73]
	v_add_f64 v[18:19], v[22:23], v[18:19]
	v_fma_f64 v[44:45], v[32:33], 2.0, -v[82:83]
	v_fma_f64 v[50:51], v[50:51], 2.0, -v[86:87]
	;; [unrolled: 1-line block ×7, first 2 shown]
	v_add_f64 v[60:61], v[44:45], -v[32:33]
	v_fma_f64 v[32:33], s[10:11], v[42:43], v[50:51]
	v_fma_f64 v[38:39], s[10:11], v[56:57], v[52:53]
	v_mul_f64 v[72:73], v[22:23], s[4:5]
	v_mul_f64 v[58:59], v[46:47], s[4:5]
	;; [unrolled: 1-line block ×3, first 2 shown]
	v_fmac_f64_e32 v[32:33], s[10:11], v[56:57]
	v_fmac_f64_e32 v[38:39], s[4:5], v[42:43]
	v_add_f64 v[18:19], v[78:79], -v[90:91]
	v_add_f64 v[22:23], v[82:83], v[54:55]
	v_fma_f64 v[42:43], s[4:5], v[20:21], v[86:87]
	v_fma_f64 v[46:47], s[4:5], v[64:65], v[88:89]
	v_fma_f64 v[56:57], v[50:51], 2.0, -v[32:33]
	v_fma_f64 v[74:75], v[52:53], 2.0, -v[38:39]
	;; [unrolled: 1-line block ×4, first 2 shown]
	v_fmac_f64_e32 v[42:43], s[10:11], v[64:65]
	v_fmac_f64_e32 v[46:47], s[4:5], v[20:21]
	v_add_f64 v[34:35], v[4:5], -v[34:35]
	v_add_f64 v[48:49], v[28:29], -v[48:49]
	v_mul_f64 v[66:67], v[76:77], s[4:5]
	v_add_f64 v[30:31], v[16:17], -v[30:31]
	v_fma_f64 v[54:55], v[86:87], 2.0, -v[42:43]
	v_fma_f64 v[64:65], v[88:89], 2.0, -v[46:47]
	v_mul_f64 v[76:77], v[50:51], s[4:5]
	v_mul_f64 v[78:79], v[52:53], s[4:5]
	;; [unrolled: 1-line block ×4, first 2 shown]
	s_and_saveexec_b64 s[4:5], s[0:1]
	s_cbranch_execz .LBB0_23
; %bb.22:
	s_waitcnt vmcnt(0)
	v_mul_f64 v[18:19], v[14:15], v[26:27]
	v_fma_f64 v[18:19], v[2:3], v[24:25], -v[18:19]
	v_add_f64 v[18:19], v[6:7], -v[18:19]
	v_add_f64 v[20:21], v[18:19], -v[12:13]
	v_fma_f64 v[6:7], v[6:7], 2.0, -v[18:19]
	v_fma_f64 v[36:37], v[36:37], 2.0, -v[8:9]
	;; [unrolled: 1-line block ×3, first 2 shown]
	v_add_f64 v[22:23], v[20:21], v[58:59]
	v_add_f64 v[36:37], v[6:7], -v[36:37]
	v_add_f64 v[92:93], v[18:19], -v[66:67]
	v_add_f64 v[22:23], v[22:23], -v[62:63]
	s_mov_b32 s11, 0x3fed906b
	s_mov_b32 s10, 0xcf328d46
	v_add_f64 v[92:93], v[92:93], -v[72:73]
	v_fma_f64 v[6:7], v[6:7], 2.0, -v[36:37]
	v_fma_f64 v[4:5], v[4:5], 2.0, -v[34:35]
	v_fma_f64 v[82:83], s[10:11], v[42:43], v[22:23]
	s_mov_b32 s12, 0xa6aea964
	s_mov_b32 s11, 0xbfed906b
	v_add_f64 v[4:5], v[6:7], -v[4:5]
	v_fma_f64 v[18:19], v[18:19], 2.0, -v[92:93]
	s_mov_b32 s13, 0xbfd87de2
	v_add_f64 v[88:89], v[36:37], -v[48:49]
	v_fma_f64 v[94:95], s[10:11], v[56:57], v[18:19]
	v_fma_f64 v[6:7], v[6:7], 2.0, -v[4:5]
	v_fma_f64 v[16:17], v[16:17], 2.0, -v[30:31]
	s_movk_i32 s14, 0x700
	v_add_f64 v[90:91], v[88:89], v[50:51]
	v_fmac_f64_e32 v[94:95], s[12:13], v[74:75]
	v_add_f64 v[16:17], v[6:7], -v[16:17]
	v_and_or_b32 v85, v81, s14, v80
	v_fmac_f64_e32 v[82:83], s[12:13], v[46:47]
	v_add_f64 v[90:91], v[90:91], -v[52:53]
	v_fma_f64 v[18:19], v[18:19], 2.0, -v[94:95]
	v_fma_f64 v[6:7], v[6:7], 2.0, -v[16:17]
	v_lshl_add_u32 v85, v85, 3, 0
	v_fma_f64 v[20:21], v[20:21], 2.0, -v[22:23]
	v_fma_f64 v[36:37], v[36:37], 2.0, -v[88:89]
	v_fma_f64 v[86:87], v[22:23], 2.0, -v[82:83]
	ds_write2_b64 v85, v[6:7], v[18:19] offset1:16
	v_fma_f64 v[6:7], v[88:89], 2.0, -v[90:91]
	v_fma_f64 v[22:23], s[12:13], v[54:55], v[20:21]
	v_add_f64 v[88:89], v[36:37], -v[76:77]
	s_mov_b32 s14, s12
	v_fmac_f64_e32 v[22:23], s[10:11], v[64:65]
	v_add_f64 v[88:89], v[88:89], -v[78:79]
	v_fma_f64 v[18:19], s[14:15], v[32:33], v[92:93]
	v_fma_f64 v[20:21], v[20:21], 2.0, -v[22:23]
	v_fma_f64 v[36:37], v[36:37], 2.0, -v[88:89]
	v_fmac_f64_e32 v[18:19], s[10:11], v[38:39]
	ds_write2_b64 v85, v[36:37], v[20:21] offset0:32 offset1:48
	v_add_f64 v[20:21], v[4:5], -v[60:61]
	v_fma_f64 v[92:93], v[92:93], 2.0, -v[18:19]
	v_fma_f64 v[4:5], v[4:5], 2.0, -v[20:21]
	ds_write2_b64 v85, v[4:5], v[92:93] offset0:64 offset1:80
	ds_write2_b64 v85, v[6:7], v[86:87] offset0:96 offset1:112
	;; [unrolled: 1-line block ×6, first 2 shown]
.LBB0_23:
	s_or_b64 exec, exec, s[4:5]
	s_waitcnt lgkmcnt(0)
	s_barrier
	ds_read2st64_b64 v[4:7], v84 offset1:4
	ds_read2st64_b64 v[16:19], v84 offset0:8 offset1:12
	ds_read2st64_b64 v[20:23], v84 offset0:16 offset1:20
	s_waitcnt lgkmcnt(0)
	s_barrier
	s_and_saveexec_b64 s[4:5], s[0:1]
	s_cbranch_execz .LBB0_25
; %bb.24:
	s_waitcnt vmcnt(0)
	v_mul_f64 v[2:3], v[2:3], v[26:27]
	v_fmac_f64_e32 v[2:3], v[14:15], v[24:25]
	v_add_f64 v[2:3], v[10:11], -v[2:3]
	v_add_f64 v[8:9], v[2:3], v[8:9]
	v_fma_f64 v[10:11], v[10:11], 2.0, -v[2:3]
	v_fma_f64 v[2:3], v[2:3], 2.0, -v[8:9]
	;; [unrolled: 1-line block ×4, first 2 shown]
	v_add_f64 v[24:25], v[2:3], -v[72:73]
	v_add_f64 v[28:29], v[8:9], v[62:63]
	v_add_f64 v[12:13], v[10:11], -v[12:13]
	v_add_f64 v[24:25], v[66:67], v[24:25]
	v_add_f64 v[28:29], v[58:59], v[28:29]
	s_mov_b32 s10, 0xa6aea964
	v_fma_f64 v[10:11], v[10:11], 2.0, -v[12:13]
	v_fma_f64 v[2:3], v[2:3], 2.0, -v[24:25]
	;; [unrolled: 1-line block ×3, first 2 shown]
	s_mov_b32 s1, 0xbfed906b
	s_mov_b32 s0, 0xcf328d46
	;; [unrolled: 1-line block ×5, first 2 shown]
	v_add_f64 v[14:15], v[10:11], -v[14:15]
	v_add_f64 v[26:27], v[12:13], v[34:35]
	v_fma_f64 v[34:35], v[44:45], 2.0, -v[60:61]
	v_fma_f64 v[36:37], s[0:1], v[74:75], v[2:3]
	v_fma_f64 v[44:45], s[12:13], v[64:65], v[8:9]
	s_mov_b32 s1, 0x3fed906b
	v_fma_f64 v[38:39], s[10:11], v[38:39], v[24:25]
	v_fma_f64 v[10:11], v[10:11], 2.0, -v[14:15]
	v_fma_f64 v[12:13], v[12:13], 2.0, -v[26:27]
	v_fmac_f64_e32 v[44:45], s[0:1], v[54:55]
	v_fmac_f64_e32 v[38:39], s[0:1], v[32:33]
	v_fma_f64 v[46:47], s[0:1], v[46:47], v[28:29]
	s_movk_i32 s0, 0x700
	v_add_f64 v[34:35], v[10:11], -v[34:35]
	v_fmac_f64_e32 v[36:37], s[10:11], v[56:57]
	v_add_f64 v[40:41], v[12:13], -v[78:79]
	v_add_f64 v[32:33], v[26:27], v[52:53]
	v_fmac_f64_e32 v[46:47], s[10:11], v[42:43]
	v_and_or_b32 v42, v81, s0, v80
	v_fma_f64 v[10:11], v[10:11], 2.0, -v[34:35]
	v_fma_f64 v[2:3], v[2:3], 2.0, -v[36:37]
	v_add_f64 v[40:41], v[76:77], v[40:41]
	v_add_f64 v[30:31], v[14:15], v[30:31]
	v_add_f64 v[32:33], v[50:51], v[32:33]
	v_lshl_add_u32 v42, v42, 3, 0
	v_fma_f64 v[12:13], v[12:13], 2.0, -v[40:41]
	v_fma_f64 v[8:9], v[8:9], 2.0, -v[44:45]
	;; [unrolled: 1-line block ×6, first 2 shown]
	ds_write2_b64 v42, v[10:11], v[2:3] offset1:16
	ds_write2_b64 v42, v[12:13], v[8:9] offset0:32 offset1:48
	ds_write2_b64 v42, v[14:15], v[24:25] offset0:64 offset1:80
	;; [unrolled: 1-line block ×7, first 2 shown]
.LBB0_25:
	s_or_b64 exec, exec, s[4:5]
	s_waitcnt lgkmcnt(0)
	s_barrier
	s_and_saveexec_b64 s[0:1], vcc
	s_cbranch_execz .LBB0_27
; %bb.26:
	v_mul_u32_u24_e32 v0, 5, v0
	v_lshlrev_b32_e32 v0, 4, v0
	global_load_dwordx4 v[8:11], v0, s[8:9] offset:3856
	global_load_dwordx4 v[12:15], v0, s[8:9] offset:3888
	global_load_dwordx4 v[24:27], v0, s[8:9] offset:3840
	global_load_dwordx4 v[28:31], v0, s[8:9] offset:3872
	global_load_dwordx4 v[32:35], v0, s[8:9] offset:3904
	ds_read2st64_b64 v[36:39], v84 offset0:8 offset1:12
	ds_read2st64_b64 v[40:43], v84 offset0:16 offset1:20
	ds_read2st64_b64 v[44:47], v84 offset1:4
	v_mul_lo_u32 v0, s3, v70
	v_mul_lo_u32 v49, s2, v71
	v_mad_u64_u32 v[2:3], s[0:1], s2, v70, 0
	v_add3_u32 v3, v3, v49, v0
	v_lshlrev_b32_e32 v48, 4, v1
	v_lshl_add_u64 v[0:1], v[2:3], 4, s[6:7]
	v_lshl_add_u64 v[50:51], v[68:69], 4, v[0:1]
	s_mov_b32 s0, 0xe8584caa
	s_mov_b32 s1, 0x3febb67a
	;; [unrolled: 1-line block ×4, first 2 shown]
	v_mov_b32_e32 v49, 0
	s_waitcnt vmcnt(4) lgkmcnt(2)
	v_mul_f64 v[0:1], v[36:37], v[10:11]
	s_waitcnt vmcnt(3) lgkmcnt(1)
	v_mul_f64 v[2:3], v[40:41], v[14:15]
	v_mul_f64 v[10:11], v[16:17], v[10:11]
	;; [unrolled: 1-line block ×3, first 2 shown]
	s_waitcnt vmcnt(1)
	v_mul_f64 v[54:55], v[38:39], v[30:31]
	s_waitcnt vmcnt(0)
	v_mul_f64 v[56:57], v[42:43], v[34:35]
	v_mul_f64 v[30:31], v[18:19], v[30:31]
	;; [unrolled: 1-line block ×3, first 2 shown]
	s_waitcnt lgkmcnt(0)
	v_mul_f64 v[52:53], v[46:47], v[26:27]
	v_mul_f64 v[26:27], v[6:7], v[26:27]
	v_fma_f64 v[0:1], v[16:17], v[8:9], -v[0:1]
	v_fma_f64 v[2:3], v[20:21], v[12:13], -v[2:3]
	v_fmac_f64_e32 v[10:11], v[8:9], v[36:37]
	v_fmac_f64_e32 v[14:15], v[12:13], v[40:41]
	v_fma_f64 v[8:9], v[18:19], v[28:29], -v[54:55]
	v_fma_f64 v[12:13], v[22:23], v[32:33], -v[56:57]
	v_fmac_f64_e32 v[30:31], v[28:29], v[38:39]
	v_fmac_f64_e32 v[34:35], v[32:33], v[42:43]
	v_fma_f64 v[6:7], v[6:7], v[24:25], -v[52:53]
	v_fmac_f64_e32 v[26:27], v[24:25], v[46:47]
	v_add_f64 v[18:19], v[10:11], v[14:15]
	v_add_f64 v[20:21], v[8:9], v[12:13]
	;; [unrolled: 1-line block ×3, first 2 shown]
	v_add_f64 v[22:23], v[30:31], -v[34:35]
	v_add_f64 v[24:25], v[8:9], -v[12:13]
	v_add_f64 v[32:33], v[10:11], v[44:45]
	v_add_f64 v[30:31], v[26:27], v[30:31]
	;; [unrolled: 1-line block ×3, first 2 shown]
	v_fma_f64 v[38:39], -0.5, v[18:19], v[44:45]
	v_fma_f64 v[18:19], -0.5, v[20:21], v[6:7]
	;; [unrolled: 1-line block ×3, first 2 shown]
	v_add_f64 v[10:11], v[10:11], -v[14:15]
	v_add_f64 v[6:7], v[32:33], v[14:15]
	v_add_f64 v[14:15], v[30:31], v[34:35]
	;; [unrolled: 1-line block ×3, first 2 shown]
	v_fma_f64 v[12:13], s[2:3], v[22:23], v[18:19]
	v_fma_f64 v[30:31], s[0:1], v[24:25], v[20:21]
	v_fmac_f64_e32 v[18:19], s[0:1], v[22:23]
	v_add_f64 v[16:17], v[0:1], -v[2:3]
	v_add_f64 v[36:37], v[0:1], v[2:3]
	v_add_f64 v[0:1], v[4:5], v[0:1]
	v_fmac_f64_e32 v[20:21], s[2:3], v[24:25]
	v_mul_f64 v[22:23], v[30:31], -0.5
	v_mul_f64 v[24:25], v[18:19], s[2:3]
	v_fma_f64 v[26:27], -0.5, v[36:37], v[4:5]
	v_add_f64 v[4:5], v[0:1], v[2:3]
	v_fma_f64 v[28:29], s[0:1], v[16:17], v[38:39]
	v_fmac_f64_e32 v[38:39], s[2:3], v[16:17]
	v_mul_f64 v[34:35], v[20:21], s[0:1]
	v_fmac_f64_e32 v[22:23], s[2:3], v[12:13]
	v_fmac_f64_e32 v[24:25], 0.5, v[20:21]
	v_add_f64 v[2:3], v[6:7], -v[14:15]
	v_fma_f64 v[16:17], s[2:3], v[10:11], v[26:27]
	v_fmac_f64_e32 v[26:27], s[0:1], v[10:11]
	v_add_f64 v[0:1], v[4:5], -v[8:9]
	v_add_f64 v[6:7], v[6:7], v[14:15]
	v_add_f64 v[4:5], v[4:5], v[8:9]
	v_fmac_f64_e32 v[34:35], 0.5, v[18:19]
	v_add_f64 v[10:11], v[28:29], -v[22:23]
	v_add_f64 v[14:15], v[38:39], -v[24:25]
	v_add_f64 v[18:19], v[28:29], v[22:23]
	v_add_f64 v[22:23], v[38:39], v[24:25]
	v_lshl_add_u64 v[24:25], v[50:51], 0, v[48:49]
	global_store_dwordx4 v[24:25], v[4:7], off
	v_mul_f64 v[32:33], v[12:13], -0.5
	v_add_f64 v[20:21], v[26:27], v[34:35]
	v_or_b32_e32 v4, 0x1000, v48
	v_mov_b32_e32 v5, v49
	v_lshl_add_u64 v[4:5], v[50:51], 0, v[4:5]
	v_fmac_f64_e32 v[32:33], s[0:1], v[30:31]
	global_store_dwordx4 v[4:5], v[20:23], off
	v_or_b32_e32 v4, 0x2000, v48
	v_mov_b32_e32 v5, v49
	v_add_f64 v[8:9], v[16:17], -v[32:33]
	v_add_f64 v[16:17], v[16:17], v[32:33]
	v_lshl_add_u64 v[4:5], v[50:51], 0, v[4:5]
	global_store_dwordx4 v[4:5], v[16:19], off
	v_or_b32_e32 v4, 0x3000, v48
	v_mov_b32_e32 v5, v49
	v_lshl_add_u64 v[4:5], v[50:51], 0, v[4:5]
	global_store_dwordx4 v[4:5], v[0:3], off
	v_add_f64 v[12:13], v[26:27], -v[34:35]
	s_nop 0
	v_or_b32_e32 v0, 0x4000, v48
	v_mov_b32_e32 v1, v49
	v_lshl_add_u64 v[0:1], v[50:51], 0, v[0:1]
	v_or_b32_e32 v48, 0x5000, v48
	global_store_dwordx4 v[0:1], v[12:15], off
	v_lshl_add_u64 v[0:1], v[50:51], 0, v[48:49]
	global_store_dwordx4 v[0:1], v[8:11], off
.LBB0_27:
	s_endpgm
	.section	.rodata,"a",@progbits
	.p2align	6, 0x0
	.amdhsa_kernel fft_rtc_fwd_len1536_factors_16_16_6_wgs_256_tpt_256_halfLds_dp_op_CI_CI_unitstride_sbrr_dirReg
		.amdhsa_group_segment_fixed_size 0
		.amdhsa_private_segment_fixed_size 0
		.amdhsa_kernarg_size 104
		.amdhsa_user_sgpr_count 2
		.amdhsa_user_sgpr_dispatch_ptr 0
		.amdhsa_user_sgpr_queue_ptr 0
		.amdhsa_user_sgpr_kernarg_segment_ptr 1
		.amdhsa_user_sgpr_dispatch_id 0
		.amdhsa_user_sgpr_kernarg_preload_length 0
		.amdhsa_user_sgpr_kernarg_preload_offset 0
		.amdhsa_user_sgpr_private_segment_size 0
		.amdhsa_uses_dynamic_stack 0
		.amdhsa_enable_private_segment 0
		.amdhsa_system_sgpr_workgroup_id_x 1
		.amdhsa_system_sgpr_workgroup_id_y 0
		.amdhsa_system_sgpr_workgroup_id_z 0
		.amdhsa_system_sgpr_workgroup_info 0
		.amdhsa_system_vgpr_workitem_id 0
		.amdhsa_next_free_vgpr 106
		.amdhsa_next_free_sgpr 28
		.amdhsa_accum_offset 108
		.amdhsa_reserve_vcc 1
		.amdhsa_float_round_mode_32 0
		.amdhsa_float_round_mode_16_64 0
		.amdhsa_float_denorm_mode_32 3
		.amdhsa_float_denorm_mode_16_64 3
		.amdhsa_dx10_clamp 1
		.amdhsa_ieee_mode 1
		.amdhsa_fp16_overflow 0
		.amdhsa_tg_split 0
		.amdhsa_exception_fp_ieee_invalid_op 0
		.amdhsa_exception_fp_denorm_src 0
		.amdhsa_exception_fp_ieee_div_zero 0
		.amdhsa_exception_fp_ieee_overflow 0
		.amdhsa_exception_fp_ieee_underflow 0
		.amdhsa_exception_fp_ieee_inexact 0
		.amdhsa_exception_int_div_zero 0
	.end_amdhsa_kernel
	.text
.Lfunc_end0:
	.size	fft_rtc_fwd_len1536_factors_16_16_6_wgs_256_tpt_256_halfLds_dp_op_CI_CI_unitstride_sbrr_dirReg, .Lfunc_end0-fft_rtc_fwd_len1536_factors_16_16_6_wgs_256_tpt_256_halfLds_dp_op_CI_CI_unitstride_sbrr_dirReg
                                        ; -- End function
	.section	.AMDGPU.csdata,"",@progbits
; Kernel info:
; codeLenInByte = 6512
; NumSgprs: 34
; NumVgprs: 106
; NumAgprs: 0
; TotalNumVgprs: 106
; ScratchSize: 0
; MemoryBound: 1
; FloatMode: 240
; IeeeMode: 1
; LDSByteSize: 0 bytes/workgroup (compile time only)
; SGPRBlocks: 4
; VGPRBlocks: 13
; NumSGPRsForWavesPerEU: 34
; NumVGPRsForWavesPerEU: 106
; AccumOffset: 108
; Occupancy: 4
; WaveLimiterHint : 1
; COMPUTE_PGM_RSRC2:SCRATCH_EN: 0
; COMPUTE_PGM_RSRC2:USER_SGPR: 2
; COMPUTE_PGM_RSRC2:TRAP_HANDLER: 0
; COMPUTE_PGM_RSRC2:TGID_X_EN: 1
; COMPUTE_PGM_RSRC2:TGID_Y_EN: 0
; COMPUTE_PGM_RSRC2:TGID_Z_EN: 0
; COMPUTE_PGM_RSRC2:TIDIG_COMP_CNT: 0
; COMPUTE_PGM_RSRC3_GFX90A:ACCUM_OFFSET: 26
; COMPUTE_PGM_RSRC3_GFX90A:TG_SPLIT: 0
	.text
	.p2alignl 6, 3212836864
	.fill 256, 4, 3212836864
	.type	__hip_cuid_cb5fa2a342a744e4,@object ; @__hip_cuid_cb5fa2a342a744e4
	.section	.bss,"aw",@nobits
	.globl	__hip_cuid_cb5fa2a342a744e4
__hip_cuid_cb5fa2a342a744e4:
	.byte	0                               ; 0x0
	.size	__hip_cuid_cb5fa2a342a744e4, 1

	.ident	"AMD clang version 19.0.0git (https://github.com/RadeonOpenCompute/llvm-project roc-6.4.0 25133 c7fe45cf4b819c5991fe208aaa96edf142730f1d)"
	.section	".note.GNU-stack","",@progbits
	.addrsig
	.addrsig_sym __hip_cuid_cb5fa2a342a744e4
	.amdgpu_metadata
---
amdhsa.kernels:
  - .agpr_count:     0
    .args:
      - .actual_access:  read_only
        .address_space:  global
        .offset:         0
        .size:           8
        .value_kind:     global_buffer
      - .offset:         8
        .size:           8
        .value_kind:     by_value
      - .actual_access:  read_only
        .address_space:  global
        .offset:         16
        .size:           8
        .value_kind:     global_buffer
      - .actual_access:  read_only
        .address_space:  global
        .offset:         24
        .size:           8
        .value_kind:     global_buffer
      - .actual_access:  read_only
        .address_space:  global
        .offset:         32
        .size:           8
        .value_kind:     global_buffer
      - .offset:         40
        .size:           8
        .value_kind:     by_value
      - .actual_access:  read_only
        .address_space:  global
        .offset:         48
        .size:           8
        .value_kind:     global_buffer
      - .actual_access:  read_only
        .address_space:  global
        .offset:         56
        .size:           8
        .value_kind:     global_buffer
      - .offset:         64
        .size:           4
        .value_kind:     by_value
      - .actual_access:  read_only
        .address_space:  global
        .offset:         72
        .size:           8
        .value_kind:     global_buffer
      - .actual_access:  read_only
        .address_space:  global
        .offset:         80
        .size:           8
        .value_kind:     global_buffer
      - .actual_access:  read_only
        .address_space:  global
        .offset:         88
        .size:           8
        .value_kind:     global_buffer
      - .actual_access:  write_only
        .address_space:  global
        .offset:         96
        .size:           8
        .value_kind:     global_buffer
    .group_segment_fixed_size: 0
    .kernarg_segment_align: 8
    .kernarg_segment_size: 104
    .language:       OpenCL C
    .language_version:
      - 2
      - 0
    .max_flat_workgroup_size: 256
    .name:           fft_rtc_fwd_len1536_factors_16_16_6_wgs_256_tpt_256_halfLds_dp_op_CI_CI_unitstride_sbrr_dirReg
    .private_segment_fixed_size: 0
    .sgpr_count:     34
    .sgpr_spill_count: 0
    .symbol:         fft_rtc_fwd_len1536_factors_16_16_6_wgs_256_tpt_256_halfLds_dp_op_CI_CI_unitstride_sbrr_dirReg.kd
    .uniform_work_group_size: 1
    .uses_dynamic_stack: false
    .vgpr_count:     106
    .vgpr_spill_count: 0
    .wavefront_size: 64
amdhsa.target:   amdgcn-amd-amdhsa--gfx950
amdhsa.version:
  - 1
  - 2
...

	.end_amdgpu_metadata
